;; amdgpu-corpus repo=ROCm/rocFFT kind=compiled arch=gfx1030 opt=O3
	.text
	.amdgcn_target "amdgcn-amd-amdhsa--gfx1030"
	.amdhsa_code_object_version 6
	.protected	fft_rtc_fwd_len55_factors_5_11_wgs_132_tpt_11_halfLds_dim1_dp_ip_CI_unitstride_sbrr_dirReg ; -- Begin function fft_rtc_fwd_len55_factors_5_11_wgs_132_tpt_11_halfLds_dim1_dp_ip_CI_unitstride_sbrr_dirReg
	.globl	fft_rtc_fwd_len55_factors_5_11_wgs_132_tpt_11_halfLds_dim1_dp_ip_CI_unitstride_sbrr_dirReg
	.p2align	8
	.type	fft_rtc_fwd_len55_factors_5_11_wgs_132_tpt_11_halfLds_dim1_dp_ip_CI_unitstride_sbrr_dirReg,@function
fft_rtc_fwd_len55_factors_5_11_wgs_132_tpt_11_halfLds_dim1_dp_ip_CI_unitstride_sbrr_dirReg: ; @fft_rtc_fwd_len55_factors_5_11_wgs_132_tpt_11_halfLds_dim1_dp_ip_CI_unitstride_sbrr_dirReg
; %bb.0:
	s_clause 0x1
	s_load_dwordx4 s[8:11], s[4:5], 0x10
	s_load_dwordx2 s[2:3], s[4:5], 0x48
	v_mul_u32_u24_e32 v1, 0x1746, v0
                                        ; implicit-def: $vgpr32_vgpr33
                                        ; implicit-def: $vgpr24_vgpr25
                                        ; implicit-def: $vgpr28_vgpr29
                                        ; implicit-def: $vgpr20_vgpr21
                                        ; implicit-def: $vgpr16_vgpr17
	v_lshrrev_b32_e32 v3, 16, v1
	v_mad_u64_u32 v[1:2], null, s6, 12, v[3:4]
	v_mul_lo_u16 v3, v3, 11
	v_sub_nc_u16 v0, v0, v3
	s_waitcnt lgkmcnt(0)
	s_load_dwordx2 s[0:1], s[8:9], 0x8
	v_and_b32_e32 v46, 0xffff, v0
	v_lshlrev_b32_e32 v86, 4, v46
	s_waitcnt lgkmcnt(0)
	v_mad_u64_u32 v[4:5], null, s0, v1, 0
	v_mov_b32_e32 v2, v5
	v_mad_u64_u32 v[5:6], null, s1, v1, v[2:3]
	v_mov_b32_e32 v2, 0
	v_cmp_gt_u64_e32 vcc_lo, s[10:11], v[1:2]
	v_lshlrev_b64 v[34:35], 4, v[4:5]
	s_and_saveexec_b32 s1, vcc_lo
; %bb.1:
	v_add_co_u32 v0, s0, s2, v34
	v_add_co_ci_u32_e64 v3, s0, s3, v35, s0
	v_add_co_u32 v2, s0, v0, v86
	v_add_co_ci_u32_e64 v3, s0, 0, v3, s0
	s_clause 0x4
	global_load_dwordx4 v[14:17], v[2:3], off
	global_load_dwordx4 v[18:21], v[2:3], off offset:176
	global_load_dwordx4 v[26:29], v[2:3], off offset:352
	;; [unrolled: 1-line block ×4, first 2 shown]
; %bb.2:
	s_or_b32 exec_lo, exec_lo, s1
	s_waitcnt vmcnt(1)
	v_add_f64 v[2:3], v[22:23], v[26:27]
	s_waitcnt vmcnt(0)
	v_add_f64 v[4:5], v[30:31], v[18:19]
	v_add_f64 v[6:7], v[18:19], v[14:15]
	v_add_f64 v[8:9], v[20:21], -v[32:33]
	v_add_f64 v[10:11], v[28:29], -v[24:25]
	s_mov_b32 s6, 0x134454ff
	s_mov_b32 s7, 0x3fee6f0e
	;; [unrolled: 1-line block ×4, first 2 shown]
	v_add_f64 v[12:13], v[18:19], -v[26:27]
	v_add_f64 v[36:37], v[26:27], -v[18:19]
	;; [unrolled: 1-line block ×3, first 2 shown]
	s_mov_b32 s10, 0x4755a5e
	s_mov_b32 s11, 0x3fe2cf23
	;; [unrolled: 1-line block ×4, first 2 shown]
	v_mul_hi_u32 v0, 0xaaaaaaab, v1
	s_mov_b32 s14, 0x372fe950
	s_mov_b32 s15, 0x3fd3c6ef
	v_cmp_gt_u16_e64 s0, 5, v46
	v_lshlrev_b32_e32 v47, 3, v46
	v_fma_f64 v[2:3], v[2:3], -0.5, v[14:15]
	v_fma_f64 v[4:5], v[4:5], -0.5, v[14:15]
	v_add_f64 v[14:15], v[30:31], -v[22:23]
	v_add_f64 v[6:7], v[26:27], v[6:7]
	v_lshrrev_b32_e32 v0, 3, v0
	v_mul_lo_u32 v0, v0, 12
	v_sub_nc_u32_e32 v1, v1, v0
	v_mad_u32_u24 v0, v46, 40, 0
	v_mul_u32_u24_e32 v1, 55, v1
	v_fma_f64 v[40:41], v[8:9], s[6:7], v[2:3]
	v_fma_f64 v[42:43], v[10:11], s[8:9], v[4:5]
	;; [unrolled: 1-line block ×4, first 2 shown]
	v_add_f64 v[12:13], v[14:15], v[12:13]
	v_add_f64 v[14:15], v[38:39], v[36:37]
	v_add_f64 v[6:7], v[22:23], v[6:7]
	v_lshl_add_u32 v49, v1, 3, v0
	v_lshlrev_b32_e32 v48, 3, v1
	v_fma_f64 v[38:39], v[10:11], s[10:11], v[40:41]
	v_fma_f64 v[40:41], v[8:9], s[10:11], v[42:43]
	;; [unrolled: 1-line block ×4, first 2 shown]
                                        ; implicit-def: $vgpr10_vgpr11
	v_add_f64 v[36:37], v[30:31], v[6:7]
                                        ; implicit-def: $vgpr6_vgpr7
	v_fma_f64 v[44:45], v[12:13], s[14:15], v[38:39]
	v_fma_f64 v[42:43], v[14:15], s[14:15], v[40:41]
	;; [unrolled: 1-line block ×4, first 2 shown]
                                        ; implicit-def: $vgpr14_vgpr15
	ds_write2_b64 v49, v[36:37], v[44:45] offset1:1
	ds_write2_b64 v49, v[42:43], v[38:39] offset0:2 offset1:3
	ds_write_b64 v49, v[2:3] offset:32
	s_waitcnt lgkmcnt(0)
	s_barrier
	buffer_gl0_inv
	s_and_saveexec_b32 s1, s0
	s_cbranch_execz .LBB0_4
; %bb.3:
	v_lshlrev_b32_e32 v1, 5, v46
	v_add3_u32 v4, 0, v48, v47
	v_sub_nc_u32_e32 v0, v0, v1
	v_add_nc_u32_e32 v12, v0, v48
	ds_read2_b64 v[0:3], v12 offset0:15 offset1:20
	ds_read2_b64 v[40:43], v12 offset0:5 offset1:10
	ds_read_b64 v[36:37], v4
	ds_read2_b64 v[4:7], v12 offset0:25 offset1:30
	ds_read2_b64 v[8:11], v12 offset0:35 offset1:40
	;; [unrolled: 1-line block ×3, first 2 shown]
	s_waitcnt lgkmcnt(5)
	v_mov_b32_e32 v39, v1
	s_waitcnt lgkmcnt(4)
	v_mov_b32_e32 v45, v41
	v_mov_b32_e32 v38, v0
	;; [unrolled: 1-line block ×3, first 2 shown]
.LBB0_4:
	s_or_b32 exec_lo, exec_lo, s1
	v_add_f64 v[0:1], v[24:25], v[28:29]
	v_add_f64 v[40:41], v[32:33], v[20:21]
	;; [unrolled: 1-line block ×3, first 2 shown]
	v_add_f64 v[18:19], v[18:19], -v[30:31]
	v_add_f64 v[22:23], v[26:27], -v[22:23]
	;; [unrolled: 1-line block ×5, first 2 shown]
	s_waitcnt lgkmcnt(0)
	s_barrier
	buffer_gl0_inv
	v_fma_f64 v[0:1], v[0:1], -0.5, v[16:17]
	v_fma_f64 v[16:17], v[40:41], -0.5, v[16:17]
	v_add_f64 v[40:41], v[24:25], -v[32:33]
	v_add_f64 v[28:29], v[28:29], v[50:51]
	v_add_f64 v[26:27], v[30:31], v[26:27]
	v_fma_f64 v[50:51], v[18:19], s[8:9], v[0:1]
	v_fma_f64 v[52:53], v[22:23], s[6:7], v[16:17]
	;; [unrolled: 1-line block ×4, first 2 shown]
	v_add_f64 v[20:21], v[40:41], v[20:21]
	v_add_f64 v[24:25], v[24:25], v[28:29]
	v_fma_f64 v[28:29], v[22:23], s[12:13], v[50:51]
	v_fma_f64 v[30:31], v[18:19], s[12:13], v[52:53]
	;; [unrolled: 1-line block ×4, first 2 shown]
                                        ; implicit-def: $vgpr22_vgpr23
	v_add_f64 v[0:1], v[32:33], v[24:25]
	v_fma_f64 v[40:41], v[26:27], s[14:15], v[28:29]
	v_fma_f64 v[32:33], v[20:21], s[14:15], v[30:31]
	;; [unrolled: 1-line block ×4, first 2 shown]
                                        ; implicit-def: $vgpr30_vgpr31
                                        ; implicit-def: $vgpr26_vgpr27
	ds_write2_b64 v49, v[0:1], v[40:41] offset1:1
	ds_write2_b64 v49, v[32:33], v[16:17] offset0:2 offset1:3
	ds_write_b64 v49, v[18:19] offset:32
	s_waitcnt lgkmcnt(0)
	s_barrier
	buffer_gl0_inv
	s_and_saveexec_b32 s1, s0
	s_cbranch_execnz .LBB0_7
; %bb.5:
	s_or_b32 exec_lo, exec_lo, s1
	s_and_b32 s0, vcc_lo, s0
	s_and_saveexec_b32 s1, s0
	s_cbranch_execnz .LBB0_8
.LBB0_6:
	s_endpgm
.LBB0_7:
	v_add3_u32 v28, 0, v47, v48
	v_add3_u32 v0, 0, v48, v47
	ds_read2_b64 v[16:19], v28 offset0:15 offset1:20
	ds_read2_b64 v[47:50], v28 offset0:5 offset1:10
	ds_read_b64 v[0:1], v0
	ds_read2_b64 v[20:23], v28 offset0:25 offset1:30
	ds_read2_b64 v[24:27], v28 offset0:35 offset1:40
	;; [unrolled: 1-line block ×3, first 2 shown]
	s_waitcnt lgkmcnt(4)
	v_mov_b32_e32 v32, v49
	v_mov_b32_e32 v40, v47
	;; [unrolled: 1-line block ×4, first 2 shown]
	s_or_b32 exec_lo, exec_lo, s1
	s_and_b32 s0, vcc_lo, s0
	s_and_saveexec_b32 s1, s0
	s_cbranch_execz .LBB0_6
.LBB0_8:
	v_and_b32_e32 v47, 0xff, v46
	s_load_dwordx2 s[0:1], s[4:5], 0x0
	s_mov_b32 s6, 0xfd768dbf
	s_mov_b32 s4, 0x8764f0ba
	;; [unrolled: 1-line block ×3, first 2 shown]
	v_mul_lo_u16 v47, 0xcd, v47
	s_mov_b32 s10, 0x7f775887
	s_mov_b32 s12, 0xbb3a28a1
	;; [unrolled: 1-line block ×4, first 2 shown]
	v_lshrrev_b16 v47, 10, v47
	s_mov_b32 s16, 0x640f44db
	s_mov_b32 s22, 0x43842ef
	;; [unrolled: 1-line block ×4, first 2 shown]
	v_mul_lo_u16 v47, v47, 5
	s_mov_b32 s9, 0xbfe14ced
	s_mov_b32 s15, 0xbfd207e7
	;; [unrolled: 1-line block ×4, first 2 shown]
	v_sub_nc_u16 v46, v46, v47
	s_mov_b32 s27, 0xbfe82f19
	s_mov_b32 s25, 0x3fda9628
	;; [unrolled: 1-line block ×4, first 2 shown]
	v_mul_lo_u16 v46, v46, 10
	s_mov_b32 s23, 0x3fefac9e
	s_mov_b32 s21, 0xbfefac9e
	;; [unrolled: 1-line block ×4, first 2 shown]
	v_and_b32_e32 v46, 0xfe, v46
	s_mov_b32 s20, s22
	s_mov_b32 s19, 0x3fe14ced
	;; [unrolled: 1-line block ×4, first 2 shown]
	v_lshlrev_b32_e32 v50, 4, v46
	s_mov_b32 s28, s30
	s_waitcnt lgkmcnt(0)
	s_clause 0x9
	global_load_dwordx4 v[46:49], v50, s[0:1]
	global_load_dwordx4 v[52:55], v50, s[0:1] offset:128
	global_load_dwordx4 v[56:59], v50, s[0:1] offset:144
	;; [unrolled: 1-line block ×9, first 2 shown]
	s_mov_b32 s0, 0x9bcd5057
	s_mov_b32 s1, 0xbfeeb42a
	s_waitcnt vmcnt(9)
	v_mul_f64 v[50:51], v[40:41], v[46:47]
	s_waitcnt vmcnt(8)
	v_mul_f64 v[60:61], v[28:29], v[52:53]
	;; [unrolled: 2-line block ×3, first 2 shown]
	v_mul_f64 v[109:110], v[40:41], v[48:49]
	v_mul_f64 v[111:112], v[28:29], v[54:55]
	;; [unrolled: 1-line block ×3, first 2 shown]
	s_waitcnt vmcnt(6)
	v_mul_f64 v[95:96], v[32:33], v[62:63]
	s_waitcnt vmcnt(2)
	v_mul_f64 v[103:104], v[18:19], v[78:79]
	v_mul_f64 v[97:98], v[20:21], v[66:67]
	;; [unrolled: 1-line block ×9, first 2 shown]
	s_waitcnt vmcnt(1)
	v_mul_f64 v[105:106], v[24:25], v[87:88]
	s_waitcnt vmcnt(0)
	v_mul_f64 v[107:108], v[22:23], v[91:92]
	v_mul_f64 v[123:124], v[22:23], v[93:94]
	;; [unrolled: 1-line block ×3, first 2 shown]
	v_fma_f64 v[84:85], v[44:45], v[48:49], v[50:51]
	v_fma_f64 v[18:19], v[12:13], v[54:55], v[60:61]
	;; [unrolled: 1-line block ×3, first 2 shown]
	v_fma_f64 v[20:21], v[12:13], v[52:53], -v[111:112]
	v_fma_f64 v[12:13], v[14:15], v[56:57], -v[30:31]
	v_fma_f64 v[60:61], v[42:43], v[64:65], v[95:96]
	v_fma_f64 v[40:41], v[2:3], v[80:81], v[103:104]
	v_fma_f64 v[80:81], v[44:45], v[46:47], -v[109:110]
	v_fma_f64 v[22:23], v[10:11], v[72:73], v[99:100]
	v_fma_f64 v[28:29], v[4:5], v[68:69], v[97:98]
	v_fma_f64 v[58:59], v[42:43], v[62:63], -v[32:33]
	v_fma_f64 v[10:11], v[10:11], v[70:71], -v[113:114]
	v_fma_f64 v[50:51], v[38:39], v[76:77], v[101:102]
	v_fma_f64 v[44:45], v[2:3], v[78:79], -v[117:118]
	v_fma_f64 v[54:55], v[38:39], v[74:75], -v[115:116]
	v_fma_f64 v[24:25], v[8:9], v[89:90], v[105:106]
	v_fma_f64 v[26:27], v[6:7], v[93:94], v[107:108]
	v_fma_f64 v[2:3], v[8:9], v[87:88], -v[119:120]
	v_fma_f64 v[8:9], v[4:5], v[66:67], -v[121:122]
	;; [unrolled: 1-line block ×3, first 2 shown]
	v_add_f64 v[70:71], v[84:85], v[16:17]
	v_add_f64 v[78:79], v[84:85], -v[16:17]
	v_add_f64 v[84:85], v[0:1], v[84:85]
	v_add_f64 v[68:69], v[60:61], v[18:19]
	v_add_f64 v[76:77], v[60:61], -v[18:19]
	v_add_f64 v[56:57], v[80:81], -v[12:13]
	v_add_f64 v[52:53], v[80:81], v[12:13]
	v_add_f64 v[80:81], v[36:37], v[80:81]
	v_add_f64 v[48:49], v[58:59], -v[20:21]
	v_add_f64 v[46:47], v[58:59], v[20:21]
	v_add_f64 v[66:67], v[50:51], v[22:23]
	v_add_f64 v[74:75], v[50:51], -v[22:23]
	v_add_f64 v[42:43], v[54:55], -v[10:11]
	v_add_f64 v[64:65], v[40:41], v[24:25]
	v_add_f64 v[72:73], v[40:41], -v[24:25]
	v_add_f64 v[62:63], v[28:29], v[26:27]
	;; [unrolled: 2-line block ×4, first 2 shown]
	v_add_f64 v[14:15], v[8:9], -v[4:5]
	v_mul_f64 v[87:88], v[70:71], s[0:1]
	v_mul_f64 v[91:92], v[78:79], s[14:15]
	v_add_f64 v[60:61], v[60:61], v[84:85]
	v_mul_f64 v[107:108], v[70:71], s[10:11]
	v_mul_f64 v[111:112], v[78:79], s[26:27]
	;; [unrolled: 1-line block ×5, first 2 shown]
	v_add_f64 v[58:59], v[58:59], v[80:81]
	v_mul_f64 v[151:152], v[78:79], s[30:31]
	v_mul_f64 v[70:71], v[70:71], s[4:5]
	;; [unrolled: 1-line block ×3, first 2 shown]
	v_add_f64 v[6:7], v[8:9], v[4:5]
	v_mul_f64 v[89:90], v[68:69], s[4:5]
	v_mul_f64 v[93:94], v[76:77], s[18:19]
	;; [unrolled: 1-line block ×11, first 2 shown]
	v_add_f64 v[50:51], v[50:51], v[60:61]
	v_mul_f64 v[117:118], v[74:75], s[8:9]
	v_mul_f64 v[119:120], v[64:65], s[0:1]
	;; [unrolled: 1-line block ×5, first 2 shown]
	v_add_f64 v[54:55], v[54:55], v[58:59]
	v_mul_f64 v[129:130], v[68:69], s[0:1]
	v_mul_f64 v[133:134], v[76:77], s[6:7]
	;; [unrolled: 1-line block ×24, first 2 shown]
	v_add_f64 v[40:41], v[40:41], v[50:51]
	v_add_f64 v[44:45], v[44:45], v[54:55]
	v_fma_f64 v[80:81], v[56:57], s[6:7], v[87:88]
	v_fma_f64 v[167:168], v[52:53], s[0:1], v[91:92]
	v_fma_f64 v[91:92], v[52:53], s[0:1], -v[91:92]
	v_fma_f64 v[187:188], v[52:53], s[10:11], v[111:112]
	v_fma_f64 v[111:112], v[52:53], s[10:11], -v[111:112]
	v_fma_f64 v[203:204], v[56:57], s[22:23], v[127:128]
	v_fma_f64 v[239:240], v[56:57], s[8:9], v[70:71]
	v_fma_f64 v[243:244], v[52:53], s[4:5], -v[78:79]
	v_fma_f64 v[87:88], v[56:57], s[14:15], v[87:88]
	v_fma_f64 v[183:184], v[56:57], s[12:13], v[107:108]
	;; [unrolled: 1-line block ×5, first 2 shown]
	v_fma_f64 v[223:224], v[52:53], s[24:25], -v[151:152]
	v_fma_f64 v[127:128], v[56:57], s[20:21], v[127:128]
	v_fma_f64 v[131:132], v[52:53], s[16:17], -v[131:132]
	v_fma_f64 v[147:148], v[56:57], s[28:29], v[147:148]
	v_fma_f64 v[151:152], v[52:53], s[24:25], v[151:152]
	;; [unrolled: 1-line block ×11, first 2 shown]
	v_fma_f64 v[93:94], v[46:47], s[4:5], -v[93:94]
	v_fma_f64 v[95:96], v[42:43], s[26:27], v[95:96]
	v_fma_f64 v[97:98], v[38:39], s[10:11], -v[97:98]
	v_fma_f64 v[99:100], v[32:33], s[28:29], v[99:100]
	;; [unrolled: 2-line block ×4, first 2 shown]
	v_fma_f64 v[189:190], v[46:47], s[16:17], v[113:114]
	v_fma_f64 v[191:192], v[42:43], s[18:19], v[115:116]
	;; [unrolled: 1-line block ×8, first 2 shown]
	v_fma_f64 v[113:114], v[46:47], s[16:17], -v[113:114]
	v_fma_f64 v[115:116], v[42:43], s[8:9], v[115:116]
	v_fma_f64 v[117:118], v[38:39], s[4:5], -v[117:118]
	v_fma_f64 v[119:120], v[32:33], s[14:15], v[119:120]
	;; [unrolled: 2-line block ×4, first 2 shown]
	v_fma_f64 v[209:210], v[46:47], s[0:1], v[133:134]
	v_fma_f64 v[211:212], v[42:43], s[30:31], v[135:136]
	;; [unrolled: 1-line block ×8, first 2 shown]
	v_fma_f64 v[133:134], v[46:47], s[0:1], -v[133:134]
	v_fma_f64 v[135:136], v[42:43], s[28:29], v[135:136]
	v_fma_f64 v[137:138], v[38:39], s[24:25], -v[137:138]
	v_fma_f64 v[139:140], v[32:33], s[8:9], v[139:140]
	;; [unrolled: 2-line block ×10, first 2 shown]
	v_fma_f64 v[70:71], v[32:33], s[26:27], v[64:65]
	v_fma_f64 v[50:51], v[30:31], s[10:11], -v[72:73]
	v_fma_f64 v[54:55], v[14:15], s[14:15], v[62:63]
	v_fma_f64 v[52:53], v[52:53], s[4:5], v[78:79]
	v_fma_f64 v[78:79], v[6:7], s[0:1], -v[82:83]
	v_fma_f64 v[149:150], v[48:49], s[12:13], v[149:150]
	v_fma_f64 v[48:49], v[48:49], s[28:29], v[68:69]
	;; [unrolled: 1-line block ×16, first 2 shown]
	v_add_f64 v[6:7], v[28:29], v[40:41]
	v_add_f64 v[8:9], v[8:9], v[44:45]
	;; [unrolled: 1-line block ×112, first 2 shown]
	v_add_co_u32 v16, vcc_lo, s2, v34
	v_add_co_ci_u32_e32 v17, vcc_lo, s3, v35, vcc_lo
	v_add_co_u32 v16, vcc_lo, v16, v86
	v_add_co_ci_u32_e32 v17, vcc_lo, 0, v17, vcc_lo
	global_store_dwordx4 v[16:17], v[36:39], off offset:80
	global_store_dwordx4 v[16:17], v[30:33], off offset:160
	global_store_dwordx4 v[16:17], v[26:29], off offset:240
	global_store_dwordx4 v[16:17], v[18:21], off offset:320
	global_store_dwordx4 v[16:17], v[4:7], off offset:400
	global_store_dwordx4 v[16:17], v[0:3], off offset:480
	global_store_dwordx4 v[16:17], v[8:11], off offset:560
	global_store_dwordx4 v[16:17], v[22:25], off offset:640
	global_store_dwordx4 v[16:17], v[40:43], off offset:720
	global_store_dwordx4 v[16:17], v[12:15], off
	global_store_dwordx4 v[16:17], v[44:47], off offset:800
	s_endpgm
	.section	.rodata,"a",@progbits
	.p2align	6, 0x0
	.amdhsa_kernel fft_rtc_fwd_len55_factors_5_11_wgs_132_tpt_11_halfLds_dim1_dp_ip_CI_unitstride_sbrr_dirReg
		.amdhsa_group_segment_fixed_size 0
		.amdhsa_private_segment_fixed_size 0
		.amdhsa_kernarg_size 80
		.amdhsa_user_sgpr_count 6
		.amdhsa_user_sgpr_private_segment_buffer 1
		.amdhsa_user_sgpr_dispatch_ptr 0
		.amdhsa_user_sgpr_queue_ptr 0
		.amdhsa_user_sgpr_kernarg_segment_ptr 1
		.amdhsa_user_sgpr_dispatch_id 0
		.amdhsa_user_sgpr_flat_scratch_init 0
		.amdhsa_user_sgpr_private_segment_size 0
		.amdhsa_wavefront_size32 1
		.amdhsa_uses_dynamic_stack 0
		.amdhsa_system_sgpr_private_segment_wavefront_offset 0
		.amdhsa_system_sgpr_workgroup_id_x 1
		.amdhsa_system_sgpr_workgroup_id_y 0
		.amdhsa_system_sgpr_workgroup_id_z 0
		.amdhsa_system_sgpr_workgroup_info 0
		.amdhsa_system_vgpr_workitem_id 0
		.amdhsa_next_free_vgpr 251
		.amdhsa_next_free_sgpr 32
		.amdhsa_reserve_vcc 1
		.amdhsa_reserve_flat_scratch 0
		.amdhsa_float_round_mode_32 0
		.amdhsa_float_round_mode_16_64 0
		.amdhsa_float_denorm_mode_32 3
		.amdhsa_float_denorm_mode_16_64 3
		.amdhsa_dx10_clamp 1
		.amdhsa_ieee_mode 1
		.amdhsa_fp16_overflow 0
		.amdhsa_workgroup_processor_mode 1
		.amdhsa_memory_ordered 1
		.amdhsa_forward_progress 0
		.amdhsa_shared_vgpr_count 0
		.amdhsa_exception_fp_ieee_invalid_op 0
		.amdhsa_exception_fp_denorm_src 0
		.amdhsa_exception_fp_ieee_div_zero 0
		.amdhsa_exception_fp_ieee_overflow 0
		.amdhsa_exception_fp_ieee_underflow 0
		.amdhsa_exception_fp_ieee_inexact 0
		.amdhsa_exception_int_div_zero 0
	.end_amdhsa_kernel
	.text
.Lfunc_end0:
	.size	fft_rtc_fwd_len55_factors_5_11_wgs_132_tpt_11_halfLds_dim1_dp_ip_CI_unitstride_sbrr_dirReg, .Lfunc_end0-fft_rtc_fwd_len55_factors_5_11_wgs_132_tpt_11_halfLds_dim1_dp_ip_CI_unitstride_sbrr_dirReg
                                        ; -- End function
	.section	.AMDGPU.csdata,"",@progbits
; Kernel info:
; codeLenInByte = 4288
; NumSgprs: 34
; NumVgprs: 251
; ScratchSize: 0
; MemoryBound: 1
; FloatMode: 240
; IeeeMode: 1
; LDSByteSize: 0 bytes/workgroup (compile time only)
; SGPRBlocks: 4
; VGPRBlocks: 31
; NumSGPRsForWavesPerEU: 34
; NumVGPRsForWavesPerEU: 251
; Occupancy: 4
; WaveLimiterHint : 1
; COMPUTE_PGM_RSRC2:SCRATCH_EN: 0
; COMPUTE_PGM_RSRC2:USER_SGPR: 6
; COMPUTE_PGM_RSRC2:TRAP_HANDLER: 0
; COMPUTE_PGM_RSRC2:TGID_X_EN: 1
; COMPUTE_PGM_RSRC2:TGID_Y_EN: 0
; COMPUTE_PGM_RSRC2:TGID_Z_EN: 0
; COMPUTE_PGM_RSRC2:TIDIG_COMP_CNT: 0
	.text
	.p2alignl 6, 3214868480
	.fill 48, 4, 3214868480
	.type	__hip_cuid_87ce75bcfc3cf154,@object ; @__hip_cuid_87ce75bcfc3cf154
	.section	.bss,"aw",@nobits
	.globl	__hip_cuid_87ce75bcfc3cf154
__hip_cuid_87ce75bcfc3cf154:
	.byte	0                               ; 0x0
	.size	__hip_cuid_87ce75bcfc3cf154, 1

	.ident	"AMD clang version 19.0.0git (https://github.com/RadeonOpenCompute/llvm-project roc-6.4.0 25133 c7fe45cf4b819c5991fe208aaa96edf142730f1d)"
	.section	".note.GNU-stack","",@progbits
	.addrsig
	.addrsig_sym __hip_cuid_87ce75bcfc3cf154
	.amdgpu_metadata
---
amdhsa.kernels:
  - .args:
      - .actual_access:  read_only
        .address_space:  global
        .offset:         0
        .size:           8
        .value_kind:     global_buffer
      - .actual_access:  read_only
        .address_space:  global
        .offset:         8
        .size:           8
        .value_kind:     global_buffer
      - .actual_access:  read_only
        .address_space:  global
        .offset:         16
        .size:           8
        .value_kind:     global_buffer
      - .offset:         24
        .size:           8
        .value_kind:     by_value
      - .actual_access:  read_only
        .address_space:  global
        .offset:         32
        .size:           8
        .value_kind:     global_buffer
      - .actual_access:  read_only
        .address_space:  global
        .offset:         40
        .size:           8
        .value_kind:     global_buffer
      - .offset:         48
        .size:           4
        .value_kind:     by_value
      - .actual_access:  read_only
        .address_space:  global
        .offset:         56
        .size:           8
        .value_kind:     global_buffer
      - .actual_access:  read_only
        .address_space:  global
        .offset:         64
        .size:           8
        .value_kind:     global_buffer
      - .address_space:  global
        .offset:         72
        .size:           8
        .value_kind:     global_buffer
    .group_segment_fixed_size: 0
    .kernarg_segment_align: 8
    .kernarg_segment_size: 80
    .language:       OpenCL C
    .language_version:
      - 2
      - 0
    .max_flat_workgroup_size: 132
    .name:           fft_rtc_fwd_len55_factors_5_11_wgs_132_tpt_11_halfLds_dim1_dp_ip_CI_unitstride_sbrr_dirReg
    .private_segment_fixed_size: 0
    .sgpr_count:     34
    .sgpr_spill_count: 0
    .symbol:         fft_rtc_fwd_len55_factors_5_11_wgs_132_tpt_11_halfLds_dim1_dp_ip_CI_unitstride_sbrr_dirReg.kd
    .uniform_work_group_size: 1
    .uses_dynamic_stack: false
    .vgpr_count:     251
    .vgpr_spill_count: 0
    .wavefront_size: 32
    .workgroup_processor_mode: 1
amdhsa.target:   amdgcn-amd-amdhsa--gfx1030
amdhsa.version:
  - 1
  - 2
...

	.end_amdgpu_metadata
